;; amdgpu-corpus repo=ROCm/rocm-examples kind=compiled arch=gfx1250 opt=O3
	.amdgcn_target "amdgcn-amd-amdhsa--gfx1250"
	.amdhsa_code_object_version 6
	.text
	.protected	_Z20normalization_kernelPKtmPfm15HIP_vector_typeIjLj2EEt ; -- Begin function _Z20normalization_kernelPKtmPfm15HIP_vector_typeIjLj2EEt
	.globl	_Z20normalization_kernelPKtmPfm15HIP_vector_typeIjLj2EEt
	.p2align	8
	.type	_Z20normalization_kernelPKtmPfm15HIP_vector_typeIjLj2EEt,@function
_Z20normalization_kernelPKtmPfm15HIP_vector_typeIjLj2EEt: ; @_Z20normalization_kernelPKtmPfm15HIP_vector_typeIjLj2EEt
; %bb.0:
	s_clause 0x1
	s_load_u16 s15, s[0:1], 0x3e
	s_load_b96 s[12:14], s[0:1], 0x20
	s_bfe_u32 s2, ttmp6, 0x40010
	s_bfe_u32 s3, ttmp6, 0x40004
	s_add_co_i32 s2, s2, 1
	v_bfe_u32 v1, v0, 10, 10
	s_mul_i32 s2, ttmp7, s2
	s_mov_b32 s4, exec_lo
	s_add_co_i32 s2, s3, s2
	s_getreg_b32 s3, hwreg(HW_REG_IB_STS2, 6, 4)
	s_delay_alu instid0(SALU_CYCLE_1) | instskip(SKIP_4) | instid1(VALU_DEP_1)
	s_cmp_eq_u32 s3, 0
	s_cselect_b32 s2, ttmp7, s2
	s_wait_kmcnt 0x0
	v_mad_u32 v6, s2, s15, v1
	s_mov_b32 s2, 0
	v_cmpx_gt_u32_e64 s13, v6
	s_cbranch_execz .LBB0_6
; %bb.1:
	s_add_nc_u64 s[4:5], s[0:1], 48
	s_and_b32 s7, ttmp6, 15
	s_clause 0x1
	s_load_b32 s6, s[4:5], 0xc
	s_load_b64 s[16:17], s[4:5], 0x0
	s_wait_xcnt 0x0
	s_bfe_u32 s5, ttmp6, 0x4000c
	s_lshl_b32 s4, -1, s14
	s_add_co_i32 s5, s5, 1
	v_and_b32_e32 v0, 0x3ff, v0
	s_mul_i32 s5, ttmp9, s5
	s_not_b32 s14, s4
	s_add_co_i32 s18, s7, s5
	v_mov_b32_e32 v1, 0
	s_wait_kmcnt 0x0
	s_and_b32 s19, s6, 0xffff
	s_cmp_eq_u32 s3, 0
	s_load_b256 s[4:11], s[0:1], 0x0
	s_wait_xcnt 0x0
	s_cselect_b32 s0, ttmp9, s18
	s_cvt_f32_u32 s1, s14
	v_mad_u32 v7, s0, s19, v0
	s_mul_i32 s3, s16, s19
	s_mul_i32 s14, s17, s15
	s_delay_alu instid0(VALU_DEP_1)
	v_cmp_gt_u32_e64 s0, s12, v7
	s_branch .LBB0_3
.LBB0_2:                                ;   in Loop: Header=BB0_3 Depth=1
	s_or_b32 exec_lo, exec_lo, s15
	v_add_nc_u32_e32 v6, s14, v6
	s_delay_alu instid0(VALU_DEP_1) | instskip(SKIP_1) | instid1(SALU_CYCLE_1)
	v_cmp_le_u32_e32 vcc_lo, s13, v6
	s_or_b32 s2, vcc_lo, s2
	s_and_not1_b32 exec_lo, exec_lo, s2
	s_cbranch_execz .LBB0_6
.LBB0_3:                                ; =>This Loop Header: Depth=1
                                        ;     Child Loop BB0_5 Depth 2
	s_delay_alu instid0(VALU_DEP_1)
	s_and_saveexec_b32 s15, s0
	s_cbranch_execz .LBB0_2
; %bb.4:                                ;   in Loop: Header=BB0_3 Depth=1
	s_wait_kmcnt 0x0
	v_mad_nc_u64_u32 v[2:3], s6, v6, s[4:5]
	v_mad_nc_u64_u32 v[4:5], s10, v6, s[8:9]
	v_mov_b32_e32 v0, v7
	s_mov_b32 s16, 0
	s_delay_alu instid0(VALU_DEP_3) | instskip(NEXT) | instid1(VALU_DEP_3)
	v_mad_u32 v3, s7, v6, v3
	v_mad_u32 v5, s11, v6, v5
.LBB0_5:                                ;   Parent Loop BB0_3 Depth=1
                                        ; =>  This Inner Loop Header: Depth=2
	s_delay_alu instid0(VALU_DEP_2) | instskip(SKIP_4) | instid1(VALU_DEP_1)
	v_lshl_add_u64 v[8:9], v[0:1], 1, v[2:3]
	global_load_u16 v8, v[8:9], off
	s_wait_loadcnt 0x0
	v_cvt_f32_u32_e32 v10, v8
	s_wait_xcnt 0x0
	v_div_scale_f32 v8, null, s1, s1, v10
	v_div_scale_f32 v12, vcc_lo, v10, s1, v10
	s_delay_alu instid0(VALU_DEP_2) | instskip(SKIP_1) | instid1(TRANS32_DEP_1)
	v_rcp_f32_e32 v11, v8
	v_nop
	v_fma_f32 v9, -v8, v11, 1.0
	s_delay_alu instid0(VALU_DEP_1) | instskip(NEXT) | instid1(VALU_DEP_1)
	v_fmac_f32_e32 v11, v9, v11
	v_mul_f32_e32 v13, v12, v11
	s_delay_alu instid0(VALU_DEP_1) | instskip(NEXT) | instid1(VALU_DEP_1)
	v_fma_f32 v9, -v8, v13, v12
	v_fmac_f32_e32 v13, v9, v11
	s_delay_alu instid0(VALU_DEP_1) | instskip(SKIP_2) | instid1(VALU_DEP_3)
	v_fma_f32 v12, -v8, v13, v12
	v_lshl_add_u64 v[8:9], v[0:1], 2, v[4:5]
	v_add_nc_u32_e32 v0, s3, v0
	v_div_fmas_f32 v11, v12, v11, v13
	s_delay_alu instid0(VALU_DEP_2) | instskip(NEXT) | instid1(VALU_DEP_2)
	v_cmp_le_u32_e32 vcc_lo, s12, v0
	v_div_fixup_f32 v10, v11, s1, v10
	s_or_b32 s16, vcc_lo, s16
	global_store_b32 v[8:9], v10, off
	s_wait_xcnt 0x0
	s_and_not1_b32 exec_lo, exec_lo, s16
	s_cbranch_execnz .LBB0_5
	s_branch .LBB0_2
.LBB0_6:
	s_endpgm
	.section	.rodata,"a",@progbits
	.p2align	6, 0x0
	.amdhsa_kernel _Z20normalization_kernelPKtmPfm15HIP_vector_typeIjLj2EEt
		.amdhsa_group_segment_fixed_size 0
		.amdhsa_private_segment_fixed_size 0
		.amdhsa_kernarg_size 304
		.amdhsa_user_sgpr_count 2
		.amdhsa_user_sgpr_dispatch_ptr 0
		.amdhsa_user_sgpr_queue_ptr 0
		.amdhsa_user_sgpr_kernarg_segment_ptr 1
		.amdhsa_user_sgpr_dispatch_id 0
		.amdhsa_user_sgpr_kernarg_preload_length 0
		.amdhsa_user_sgpr_kernarg_preload_offset 0
		.amdhsa_user_sgpr_private_segment_size 0
		.amdhsa_wavefront_size32 1
		.amdhsa_uses_dynamic_stack 0
		.amdhsa_enable_private_segment 0
		.amdhsa_system_sgpr_workgroup_id_x 1
		.amdhsa_system_sgpr_workgroup_id_y 1
		.amdhsa_system_sgpr_workgroup_id_z 0
		.amdhsa_system_sgpr_workgroup_info 0
		.amdhsa_system_vgpr_workitem_id 1
		.amdhsa_next_free_vgpr 14
		.amdhsa_next_free_sgpr 20
		.amdhsa_named_barrier_count 0
		.amdhsa_reserve_vcc 1
		.amdhsa_float_round_mode_32 0
		.amdhsa_float_round_mode_16_64 0
		.amdhsa_float_denorm_mode_32 3
		.amdhsa_float_denorm_mode_16_64 3
		.amdhsa_fp16_overflow 0
		.amdhsa_memory_ordered 1
		.amdhsa_forward_progress 1
		.amdhsa_inst_pref_size 5
		.amdhsa_round_robin_scheduling 0
		.amdhsa_exception_fp_ieee_invalid_op 0
		.amdhsa_exception_fp_denorm_src 0
		.amdhsa_exception_fp_ieee_div_zero 0
		.amdhsa_exception_fp_ieee_overflow 0
		.amdhsa_exception_fp_ieee_underflow 0
		.amdhsa_exception_fp_ieee_inexact 0
		.amdhsa_exception_int_div_zero 0
	.end_amdhsa_kernel
	.text
.Lfunc_end0:
	.size	_Z20normalization_kernelPKtmPfm15HIP_vector_typeIjLj2EEt, .Lfunc_end0-_Z20normalization_kernelPKtmPfm15HIP_vector_typeIjLj2EEt
                                        ; -- End function
	.set _Z20normalization_kernelPKtmPfm15HIP_vector_typeIjLj2EEt.num_vgpr, 14
	.set _Z20normalization_kernelPKtmPfm15HIP_vector_typeIjLj2EEt.num_agpr, 0
	.set _Z20normalization_kernelPKtmPfm15HIP_vector_typeIjLj2EEt.numbered_sgpr, 20
	.set _Z20normalization_kernelPKtmPfm15HIP_vector_typeIjLj2EEt.num_named_barrier, 0
	.set _Z20normalization_kernelPKtmPfm15HIP_vector_typeIjLj2EEt.private_seg_size, 0
	.set _Z20normalization_kernelPKtmPfm15HIP_vector_typeIjLj2EEt.uses_vcc, 1
	.set _Z20normalization_kernelPKtmPfm15HIP_vector_typeIjLj2EEt.uses_flat_scratch, 0
	.set _Z20normalization_kernelPKtmPfm15HIP_vector_typeIjLj2EEt.has_dyn_sized_stack, 0
	.set _Z20normalization_kernelPKtmPfm15HIP_vector_typeIjLj2EEt.has_recursion, 0
	.set _Z20normalization_kernelPKtmPfm15HIP_vector_typeIjLj2EEt.has_indirect_call, 0
	.section	.AMDGPU.csdata,"",@progbits
; Kernel info:
; codeLenInByte = 516
; TotalNumSgprs: 22
; NumVgprs: 14
; ScratchSize: 0
; MemoryBound: 0
; FloatMode: 240
; IeeeMode: 1
; LDSByteSize: 0 bytes/workgroup (compile time only)
; SGPRBlocks: 0
; VGPRBlocks: 0
; NumSGPRsForWavesPerEU: 22
; NumVGPRsForWavesPerEU: 14
; NamedBarCnt: 0
; Occupancy: 16
; WaveLimiterHint : 0
; COMPUTE_PGM_RSRC2:SCRATCH_EN: 0
; COMPUTE_PGM_RSRC2:USER_SGPR: 2
; COMPUTE_PGM_RSRC2:TRAP_HANDLER: 0
; COMPUTE_PGM_RSRC2:TGID_X_EN: 1
; COMPUTE_PGM_RSRC2:TGID_Y_EN: 1
; COMPUTE_PGM_RSRC2:TGID_Z_EN: 0
; COMPUTE_PGM_RSRC2:TIDIG_COMP_CNT: 1
	.text
	.p2alignl 7, 3214868480
	.fill 96, 4, 3214868480
	.section	.AMDGPU.gpr_maximums,"",@progbits
	.set amdgpu.max_num_vgpr, 0
	.set amdgpu.max_num_agpr, 0
	.set amdgpu.max_num_sgpr, 0
	.text
	.type	__hip_cuid_ae163f9246a1b12a,@object ; @__hip_cuid_ae163f9246a1b12a
	.section	.bss,"aw",@nobits
	.globl	__hip_cuid_ae163f9246a1b12a
__hip_cuid_ae163f9246a1b12a:
	.byte	0                               ; 0x0
	.size	__hip_cuid_ae163f9246a1b12a, 1

	.ident	"AMD clang version 22.0.0git (https://github.com/RadeonOpenCompute/llvm-project roc-7.2.4 26084 f58b06dce1f9c15707c5f808fd002e18c2accf7e)"
	.section	".note.GNU-stack","",@progbits
	.addrsig
	.addrsig_sym __hip_cuid_ae163f9246a1b12a
	.amdgpu_metadata
---
amdhsa.kernels:
  - .args:
      - .actual_access:  read_only
        .address_space:  global
        .offset:         0
        .size:           8
        .value_kind:     global_buffer
      - .offset:         8
        .size:           8
        .value_kind:     by_value
      - .actual_access:  write_only
        .address_space:  global
        .offset:         16
        .size:           8
        .value_kind:     global_buffer
      - .offset:         24
        .size:           8
        .value_kind:     by_value
      - .offset:         32
        .size:           8
        .value_kind:     by_value
      - .offset:         40
        .size:           2
        .value_kind:     by_value
      - .offset:         48
        .size:           4
        .value_kind:     hidden_block_count_x
      - .offset:         52
        .size:           4
        .value_kind:     hidden_block_count_y
      - .offset:         56
        .size:           4
        .value_kind:     hidden_block_count_z
      - .offset:         60
        .size:           2
        .value_kind:     hidden_group_size_x
      - .offset:         62
        .size:           2
        .value_kind:     hidden_group_size_y
      - .offset:         64
        .size:           2
        .value_kind:     hidden_group_size_z
      - .offset:         66
        .size:           2
        .value_kind:     hidden_remainder_x
      - .offset:         68
        .size:           2
        .value_kind:     hidden_remainder_y
      - .offset:         70
        .size:           2
        .value_kind:     hidden_remainder_z
      - .offset:         88
        .size:           8
        .value_kind:     hidden_global_offset_x
      - .offset:         96
        .size:           8
        .value_kind:     hidden_global_offset_y
      - .offset:         104
        .size:           8
        .value_kind:     hidden_global_offset_z
      - .offset:         112
        .size:           2
        .value_kind:     hidden_grid_dims
    .group_segment_fixed_size: 0
    .kernarg_segment_align: 8
    .kernarg_segment_size: 304
    .language:       OpenCL C
    .language_version:
      - 2
      - 0
    .max_flat_workgroup_size: 1024
    .name:           _Z20normalization_kernelPKtmPfm15HIP_vector_typeIjLj2EEt
    .private_segment_fixed_size: 0
    .sgpr_count:     22
    .sgpr_spill_count: 0
    .symbol:         _Z20normalization_kernelPKtmPfm15HIP_vector_typeIjLj2EEt.kd
    .uniform_work_group_size: 1
    .uses_dynamic_stack: false
    .vgpr_count:     14
    .vgpr_spill_count: 0
    .wavefront_size: 32
amdhsa.target:   amdgcn-amd-amdhsa--gfx1250
amdhsa.version:
  - 1
  - 2
...

	.end_amdgpu_metadata
